;; amdgpu-corpus repo=ROCm/rocFFT kind=compiled arch=gfx906 opt=O3
	.text
	.amdgcn_target "amdgcn-amd-amdhsa--gfx906"
	.amdhsa_code_object_version 6
	.protected	fft_rtc_back_len1215_factors_5_3_3_3_3_3_wgs_243_tpt_243_halfLds_sp_ip_CI_sbrr_dirReg ; -- Begin function fft_rtc_back_len1215_factors_5_3_3_3_3_3_wgs_243_tpt_243_halfLds_sp_ip_CI_sbrr_dirReg
	.globl	fft_rtc_back_len1215_factors_5_3_3_3_3_3_wgs_243_tpt_243_halfLds_sp_ip_CI_sbrr_dirReg
	.p2align	8
	.type	fft_rtc_back_len1215_factors_5_3_3_3_3_3_wgs_243_tpt_243_halfLds_sp_ip_CI_sbrr_dirReg,@function
fft_rtc_back_len1215_factors_5_3_3_3_3_3_wgs_243_tpt_243_halfLds_sp_ip_CI_sbrr_dirReg: ; @fft_rtc_back_len1215_factors_5_3_3_3_3_3_wgs_243_tpt_243_halfLds_sp_ip_CI_sbrr_dirReg
; %bb.0:
	s_load_dwordx2 s[2:3], s[4:5], 0x18
	s_load_dwordx4 s[8:11], s[4:5], 0x0
	s_load_dwordx2 s[14:15], s[4:5], 0x50
	v_mul_u32_u24_e32 v1, 0x10e, v0
	v_add_u32_sdwa v5, s6, v1 dst_sel:DWORD dst_unused:UNUSED_PAD src0_sel:DWORD src1_sel:WORD_1
	s_waitcnt lgkmcnt(0)
	s_load_dwordx2 s[12:13], s[2:3], 0x0
	v_cmp_lt_u64_e64 s[0:1], s[10:11], 2
	v_mov_b32_e32 v3, 0
	v_mov_b32_e32 v1, 0
	;; [unrolled: 1-line block ×3, first 2 shown]
	s_and_b64 vcc, exec, s[0:1]
	v_mov_b32_e32 v2, 0
	s_cbranch_vccnz .LBB0_8
; %bb.1:
	s_load_dwordx2 s[0:1], s[4:5], 0x10
	s_add_u32 s6, s2, 8
	s_addc_u32 s7, s3, 0
	v_mov_b32_e32 v1, 0
	v_mov_b32_e32 v2, 0
	s_waitcnt lgkmcnt(0)
	s_add_u32 s16, s0, 8
	s_addc_u32 s17, s1, 0
	s_mov_b64 s[18:19], 1
.LBB0_2:                                ; =>This Inner Loop Header: Depth=1
	s_load_dwordx2 s[20:21], s[16:17], 0x0
                                        ; implicit-def: $vgpr7_vgpr8
	s_waitcnt lgkmcnt(0)
	v_or_b32_e32 v4, s21, v6
	v_cmp_ne_u64_e32 vcc, 0, v[3:4]
	s_and_saveexec_b64 s[0:1], vcc
	s_xor_b64 s[22:23], exec, s[0:1]
	s_cbranch_execz .LBB0_4
; %bb.3:                                ;   in Loop: Header=BB0_2 Depth=1
	v_cvt_f32_u32_e32 v4, s20
	v_cvt_f32_u32_e32 v7, s21
	s_sub_u32 s0, 0, s20
	s_subb_u32 s1, 0, s21
	v_mac_f32_e32 v4, 0x4f800000, v7
	v_rcp_f32_e32 v4, v4
	v_mul_f32_e32 v4, 0x5f7ffffc, v4
	v_mul_f32_e32 v7, 0x2f800000, v4
	v_trunc_f32_e32 v7, v7
	v_mac_f32_e32 v4, 0xcf800000, v7
	v_cvt_u32_f32_e32 v7, v7
	v_cvt_u32_f32_e32 v4, v4
	v_mul_lo_u32 v8, s0, v7
	v_mul_hi_u32 v9, s0, v4
	v_mul_lo_u32 v11, s1, v4
	v_mul_lo_u32 v10, s0, v4
	v_add_u32_e32 v8, v9, v8
	v_add_u32_e32 v8, v8, v11
	v_mul_hi_u32 v9, v4, v10
	v_mul_lo_u32 v11, v4, v8
	v_mul_hi_u32 v13, v4, v8
	v_mul_hi_u32 v12, v7, v10
	v_mul_lo_u32 v10, v7, v10
	v_mul_hi_u32 v14, v7, v8
	v_add_co_u32_e32 v9, vcc, v9, v11
	v_addc_co_u32_e32 v11, vcc, 0, v13, vcc
	v_mul_lo_u32 v8, v7, v8
	v_add_co_u32_e32 v9, vcc, v9, v10
	v_addc_co_u32_e32 v9, vcc, v11, v12, vcc
	v_addc_co_u32_e32 v10, vcc, 0, v14, vcc
	v_add_co_u32_e32 v8, vcc, v9, v8
	v_addc_co_u32_e32 v9, vcc, 0, v10, vcc
	v_add_co_u32_e32 v4, vcc, v4, v8
	v_addc_co_u32_e32 v7, vcc, v7, v9, vcc
	v_mul_lo_u32 v8, s0, v7
	v_mul_hi_u32 v9, s0, v4
	v_mul_lo_u32 v10, s1, v4
	v_mul_lo_u32 v11, s0, v4
	v_add_u32_e32 v8, v9, v8
	v_add_u32_e32 v8, v8, v10
	v_mul_lo_u32 v12, v4, v8
	v_mul_hi_u32 v13, v4, v11
	v_mul_hi_u32 v14, v4, v8
	;; [unrolled: 1-line block ×3, first 2 shown]
	v_mul_lo_u32 v11, v7, v11
	v_mul_hi_u32 v9, v7, v8
	v_add_co_u32_e32 v12, vcc, v13, v12
	v_addc_co_u32_e32 v13, vcc, 0, v14, vcc
	v_mul_lo_u32 v8, v7, v8
	v_add_co_u32_e32 v11, vcc, v12, v11
	v_addc_co_u32_e32 v10, vcc, v13, v10, vcc
	v_addc_co_u32_e32 v9, vcc, 0, v9, vcc
	v_add_co_u32_e32 v8, vcc, v10, v8
	v_addc_co_u32_e32 v9, vcc, 0, v9, vcc
	v_add_co_u32_e32 v4, vcc, v4, v8
	v_addc_co_u32_e32 v9, vcc, v7, v9, vcc
	v_mad_u64_u32 v[7:8], s[0:1], v5, v9, 0
	v_mul_hi_u32 v10, v5, v4
	v_add_co_u32_e32 v11, vcc, v10, v7
	v_addc_co_u32_e32 v12, vcc, 0, v8, vcc
	v_mad_u64_u32 v[7:8], s[0:1], v6, v4, 0
	v_mad_u64_u32 v[9:10], s[0:1], v6, v9, 0
	v_add_co_u32_e32 v4, vcc, v11, v7
	v_addc_co_u32_e32 v4, vcc, v12, v8, vcc
	v_addc_co_u32_e32 v7, vcc, 0, v10, vcc
	v_add_co_u32_e32 v4, vcc, v4, v9
	v_addc_co_u32_e32 v9, vcc, 0, v7, vcc
	v_mul_lo_u32 v10, s21, v4
	v_mul_lo_u32 v11, s20, v9
	v_mad_u64_u32 v[7:8], s[0:1], s20, v4, 0
	v_add3_u32 v8, v8, v11, v10
	v_sub_u32_e32 v10, v6, v8
	v_mov_b32_e32 v11, s21
	v_sub_co_u32_e32 v7, vcc, v5, v7
	v_subb_co_u32_e64 v10, s[0:1], v10, v11, vcc
	v_subrev_co_u32_e64 v11, s[0:1], s20, v7
	v_subbrev_co_u32_e64 v10, s[0:1], 0, v10, s[0:1]
	v_cmp_le_u32_e64 s[0:1], s21, v10
	v_cndmask_b32_e64 v12, 0, -1, s[0:1]
	v_cmp_le_u32_e64 s[0:1], s20, v11
	v_cndmask_b32_e64 v11, 0, -1, s[0:1]
	v_cmp_eq_u32_e64 s[0:1], s21, v10
	v_cndmask_b32_e64 v10, v12, v11, s[0:1]
	v_add_co_u32_e64 v11, s[0:1], 2, v4
	v_addc_co_u32_e64 v12, s[0:1], 0, v9, s[0:1]
	v_add_co_u32_e64 v13, s[0:1], 1, v4
	v_addc_co_u32_e64 v14, s[0:1], 0, v9, s[0:1]
	v_subb_co_u32_e32 v8, vcc, v6, v8, vcc
	v_cmp_ne_u32_e64 s[0:1], 0, v10
	v_cmp_le_u32_e32 vcc, s21, v8
	v_cndmask_b32_e64 v10, v14, v12, s[0:1]
	v_cndmask_b32_e64 v12, 0, -1, vcc
	v_cmp_le_u32_e32 vcc, s20, v7
	v_cndmask_b32_e64 v7, 0, -1, vcc
	v_cmp_eq_u32_e32 vcc, s21, v8
	v_cndmask_b32_e32 v7, v12, v7, vcc
	v_cmp_ne_u32_e32 vcc, 0, v7
	v_cndmask_b32_e64 v7, v13, v11, s[0:1]
	v_cndmask_b32_e32 v8, v9, v10, vcc
	v_cndmask_b32_e32 v7, v4, v7, vcc
.LBB0_4:                                ;   in Loop: Header=BB0_2 Depth=1
	s_andn2_saveexec_b64 s[0:1], s[22:23]
	s_cbranch_execz .LBB0_6
; %bb.5:                                ;   in Loop: Header=BB0_2 Depth=1
	v_cvt_f32_u32_e32 v4, s20
	s_sub_i32 s22, 0, s20
	v_rcp_iflag_f32_e32 v4, v4
	v_mul_f32_e32 v4, 0x4f7ffffe, v4
	v_cvt_u32_f32_e32 v4, v4
	v_mul_lo_u32 v7, s22, v4
	v_mul_hi_u32 v7, v4, v7
	v_add_u32_e32 v4, v4, v7
	v_mul_hi_u32 v4, v5, v4
	v_mul_lo_u32 v7, v4, s20
	v_add_u32_e32 v8, 1, v4
	v_sub_u32_e32 v7, v5, v7
	v_subrev_u32_e32 v9, s20, v7
	v_cmp_le_u32_e32 vcc, s20, v7
	v_cndmask_b32_e32 v7, v7, v9, vcc
	v_cndmask_b32_e32 v4, v4, v8, vcc
	v_add_u32_e32 v8, 1, v4
	v_cmp_le_u32_e32 vcc, s20, v7
	v_cndmask_b32_e32 v7, v4, v8, vcc
	v_mov_b32_e32 v8, v3
.LBB0_6:                                ;   in Loop: Header=BB0_2 Depth=1
	s_or_b64 exec, exec, s[0:1]
	v_mul_lo_u32 v4, v8, s20
	v_mul_lo_u32 v11, v7, s21
	v_mad_u64_u32 v[9:10], s[0:1], v7, s20, 0
	s_load_dwordx2 s[0:1], s[6:7], 0x0
	s_add_u32 s18, s18, 1
	v_add3_u32 v4, v10, v11, v4
	v_sub_co_u32_e32 v5, vcc, v5, v9
	v_subb_co_u32_e32 v4, vcc, v6, v4, vcc
	s_waitcnt lgkmcnt(0)
	v_mul_lo_u32 v4, s0, v4
	v_mul_lo_u32 v6, s1, v5
	v_mad_u64_u32 v[1:2], s[0:1], s0, v5, v[1:2]
	s_addc_u32 s19, s19, 0
	s_add_u32 s6, s6, 8
	v_add3_u32 v2, v6, v2, v4
	v_mov_b32_e32 v4, s10
	v_mov_b32_e32 v5, s11
	s_addc_u32 s7, s7, 0
	v_cmp_ge_u64_e32 vcc, s[18:19], v[4:5]
	s_add_u32 s16, s16, 8
	s_addc_u32 s17, s17, 0
	s_cbranch_vccnz .LBB0_9
; %bb.7:                                ;   in Loop: Header=BB0_2 Depth=1
	v_mov_b32_e32 v5, v7
	v_mov_b32_e32 v6, v8
	s_branch .LBB0_2
.LBB0_8:
	v_mov_b32_e32 v8, v6
	v_mov_b32_e32 v7, v5
.LBB0_9:
	s_lshl_b64 s[0:1], s[10:11], 3
	s_add_u32 s0, s2, s0
	s_addc_u32 s1, s3, s1
	s_load_dwordx2 s[2:3], s[0:1], 0x0
	s_load_dwordx2 s[6:7], s[4:5], 0x20
                                        ; implicit-def: $vgpr13
	s_waitcnt lgkmcnt(0)
	v_mad_u64_u32 v[1:2], s[0:1], s2, v7, v[1:2]
	s_mov_b32 s0, 0x10db20b
	v_mul_lo_u32 v3, s2, v8
	v_mul_lo_u32 v4, s3, v7
	v_mul_hi_u32 v5, v0, s0
	v_cmp_gt_u64_e32 vcc, s[6:7], v[7:8]
	v_cmp_le_u64_e64 s[0:1], s[6:7], v[7:8]
	v_add3_u32 v2, v4, v2, v3
	v_mul_u32_u24_e32 v3, 0xf3, v5
	v_sub_u32_e32 v12, v0, v3
	s_and_saveexec_b64 s[2:3], s[0:1]
	s_xor_b64 s[0:1], exec, s[2:3]
; %bb.10:
	v_add_u32_e32 v13, 0xf3, v12
; %bb.11:
	s_or_saveexec_b64 s[2:3], s[0:1]
	v_lshlrev_b64 v[0:1], 3, v[1:2]
                                        ; implicit-def: $vgpr11
                                        ; implicit-def: $vgpr5
                                        ; implicit-def: $vgpr9
                                        ; implicit-def: $vgpr7
                                        ; implicit-def: $vgpr3
	s_xor_b64 exec, exec, s[2:3]
	s_cbranch_execz .LBB0_13
; %bb.12:
	v_mad_u64_u32 v[2:3], s[0:1], s12, v12, 0
	v_add_u32_e32 v13, 0xf3, v12
	v_mov_b32_e32 v6, s15
	v_mad_u64_u32 v[3:4], s[0:1], s13, v12, v[3:4]
	v_mad_u64_u32 v[4:5], s[0:1], s12, v13, 0
	v_add_co_u32_e64 v24, s[0:1], s14, v0
	v_addc_co_u32_e64 v25, s[0:1], v6, v1, s[0:1]
	v_mad_u64_u32 v[5:6], s[0:1], s13, v13, v[5:6]
	v_add_u32_e32 v8, 0x1e6, v12
	v_mad_u64_u32 v[6:7], s[0:1], s12, v8, 0
	v_lshlrev_b64 v[2:3], 3, v[2:3]
	v_add_co_u32_e64 v10, s[0:1], v24, v2
	v_addc_co_u32_e64 v11, s[0:1], v25, v3, s[0:1]
	v_lshlrev_b64 v[2:3], 3, v[4:5]
	v_mov_b32_e32 v4, v7
	v_mad_u64_u32 v[4:5], s[0:1], s13, v8, v[4:5]
	v_add_u32_e32 v5, 0x2d9, v12
	v_mad_u64_u32 v[8:9], s[0:1], s12, v5, 0
	v_add_co_u32_e64 v14, s[0:1], v24, v2
	v_mov_b32_e32 v7, v4
	v_mov_b32_e32 v4, v9
	v_addc_co_u32_e64 v15, s[0:1], v25, v3, s[0:1]
	v_mad_u64_u32 v[4:5], s[0:1], s13, v5, v[4:5]
	v_lshlrev_b64 v[2:3], 3, v[6:7]
	v_add_co_u32_e64 v16, s[0:1], v24, v2
	v_mov_b32_e32 v9, v4
	v_add_u32_e32 v4, 0x3cc, v12
	v_addc_co_u32_e64 v17, s[0:1], v25, v3, s[0:1]
	v_mad_u64_u32 v[18:19], s[0:1], s12, v4, 0
	v_lshlrev_b64 v[2:3], 3, v[8:9]
	v_add_co_u32_e64 v20, s[0:1], v24, v2
	v_mov_b32_e32 v2, v19
	v_addc_co_u32_e64 v21, s[0:1], v25, v3, s[0:1]
	v_mad_u64_u32 v[22:23], s[0:1], s13, v4, v[2:3]
	global_load_dwordx2 v[2:3], v[10:11], off
	global_load_dwordx2 v[6:7], v[14:15], off
	;; [unrolled: 1-line block ×4, first 2 shown]
	v_mov_b32_e32 v19, v22
	v_lshlrev_b64 v[10:11], 3, v[18:19]
	v_add_co_u32_e64 v10, s[0:1], v24, v10
	v_addc_co_u32_e64 v11, s[0:1], v25, v11, s[0:1]
	global_load_dwordx2 v[10:11], v[10:11], off
.LBB0_13:
	s_or_b64 exec, exec, s[2:3]
	s_waitcnt vmcnt(1)
	v_add_f32_e32 v15, v4, v8
	v_fma_f32 v16, -0.5, v15, v2
	s_waitcnt vmcnt(0)
	v_sub_f32_e32 v15, v7, v11
	v_mov_b32_e32 v17, v16
	v_fmac_f32_e32 v17, 0xbf737871, v15
	v_sub_f32_e32 v18, v9, v5
	v_sub_f32_e32 v19, v6, v8
	;; [unrolled: 1-line block ×3, first 2 shown]
	v_fmac_f32_e32 v16, 0x3f737871, v15
	v_fmac_f32_e32 v17, 0xbf167918, v18
	v_add_f32_e32 v19, v20, v19
	v_fmac_f32_e32 v16, 0x3f167918, v18
	v_fmac_f32_e32 v17, 0x3e9e377a, v19
	;; [unrolled: 1-line block ×3, first 2 shown]
	v_add_f32_e32 v19, v10, v6
	v_add_f32_e32 v14, v6, v2
	v_fmac_f32_e32 v2, -0.5, v19
	v_add_f32_e32 v14, v8, v14
	v_mov_b32_e32 v19, v2
	v_add_f32_e32 v14, v4, v14
	v_fmac_f32_e32 v19, 0x3f737871, v18
	v_sub_f32_e32 v20, v8, v6
	v_sub_f32_e32 v21, v4, v10
	v_fmac_f32_e32 v2, 0xbf737871, v18
	v_add_f32_e32 v14, v10, v14
	v_fmac_f32_e32 v19, 0xbf167918, v15
	v_add_f32_e32 v20, v21, v20
	v_fmac_f32_e32 v2, 0x3f167918, v15
	v_mad_u32_u24 v22, v12, 20, 0
	v_fmac_f32_e32 v19, 0x3e9e377a, v20
	v_fmac_f32_e32 v2, 0x3e9e377a, v20
	ds_write2_b32 v22, v14, v17 offset1:1
	ds_write2_b32 v22, v19, v2 offset0:2 offset1:3
	ds_write_b32 v22, v16 offset:16
	v_lshlrev_b32_e32 v14, 4, v12
	v_sub_u32_e32 v15, 0, v14
	v_sub_u32_e32 v14, v22, v14
	s_waitcnt lgkmcnt(0)
	s_barrier
	ds_read_b32 v17, v14
	ds_read_b32 v20, v14 offset:1620
	ds_read_b32 v21, v14 offset:3240
	s_movk_i32 s0, 0xa2
	v_cmp_gt_u32_e64 s[0:1], s0, v12
	v_add_u32_e32 v14, v22, v15
	v_lshl_add_u32 v15, v13, 2, 0
                                        ; implicit-def: $vgpr18
	s_and_saveexec_b64 s[2:3], s[0:1]
	s_cbranch_execz .LBB0_15
; %bb.14:
	ds_read_b32 v16, v14 offset:2592
	ds_read_b32 v2, v15
	ds_read_b32 v18, v14 offset:4212
.LBB0_15:
	s_or_b64 exec, exec, s[2:3]
	v_add_f32_e32 v19, v7, v3
	v_add_f32_e32 v19, v9, v19
	;; [unrolled: 1-line block ×5, first 2 shown]
	v_fma_f32 v19, -0.5, v19, v3
	v_sub_f32_e32 v6, v6, v10
	v_mov_b32_e32 v10, v19
	v_fmac_f32_e32 v10, 0x3f737871, v6
	v_sub_f32_e32 v4, v8, v4
	v_sub_f32_e32 v8, v7, v9
	;; [unrolled: 1-line block ×3, first 2 shown]
	v_fmac_f32_e32 v19, 0xbf737871, v6
	v_fmac_f32_e32 v10, 0x3f167918, v4
	v_add_f32_e32 v8, v24, v8
	v_fmac_f32_e32 v19, 0xbf167918, v4
	v_fmac_f32_e32 v10, 0x3e9e377a, v8
	;; [unrolled: 1-line block ×3, first 2 shown]
	v_add_f32_e32 v8, v11, v7
	v_fmac_f32_e32 v3, -0.5, v8
	v_mov_b32_e32 v8, v3
	v_fmac_f32_e32 v8, 0xbf737871, v4
	v_sub_f32_e32 v7, v9, v7
	v_sub_f32_e32 v5, v5, v11
	v_fmac_f32_e32 v8, 0x3f167918, v6
	v_add_f32_e32 v5, v5, v7
	v_fmac_f32_e32 v3, 0x3f737871, v4
	v_fmac_f32_e32 v8, 0x3e9e377a, v5
	;; [unrolled: 1-line block ×4, first 2 shown]
	s_waitcnt lgkmcnt(0)
	s_barrier
	ds_write2_b32 v22, v23, v10 offset1:1
	ds_write2_b32 v22, v8, v3 offset0:2 offset1:3
	ds_write_b32 v22, v19 offset:16
	s_waitcnt lgkmcnt(0)
	s_barrier
	ds_read_b32 v6, v14
	ds_read_b32 v8, v14 offset:1620
	ds_read_b32 v7, v14 offset:3240
                                        ; implicit-def: $vgpr4
	s_and_saveexec_b64 s[2:3], s[0:1]
	s_cbranch_execz .LBB0_17
; %bb.16:
	ds_read_b32 v19, v14 offset:2592
	ds_read_b32 v3, v15
	ds_read_b32 v4, v14 offset:4212
.LBB0_17:
	s_or_b64 exec, exec, s[2:3]
	s_movk_i32 s2, 0xcd
	v_mul_lo_u16_sdwa v5, v12, s2 dst_sel:DWORD dst_unused:UNUSED_PAD src0_sel:BYTE_0 src1_sel:DWORD
	v_lshrrev_b16_e32 v9, 10, v5
	v_mul_lo_u16_e32 v5, 5, v9
	v_sub_u16_e32 v10, v12, v5
	v_mov_b32_e32 v5, 4
	v_lshlrev_b32_sdwa v5, v5, v10 dst_sel:DWORD dst_unused:UNUSED_PAD src0_sel:DWORD src1_sel:BYTE_0
	s_mov_b32 s2, 0xcccd
	global_load_dwordx4 v[22:25], v5, s[8:9]
	v_mul_u32_u24_sdwa v5, v13, s2 dst_sel:DWORD dst_unused:UNUSED_PAD src0_sel:WORD_0 src1_sel:DWORD
	v_lshrrev_b32_e32 v30, 18, v5
	v_mul_lo_u16_e32 v5, 5, v30
	v_sub_u16_e32 v31, v13, v5
	v_lshlrev_b32_e32 v5, 4, v31
	global_load_dwordx4 v[26:29], v5, s[8:9]
	s_waitcnt vmcnt(0) lgkmcnt(0)
	s_barrier
	v_mul_f32_e32 v5, v8, v23
	v_mul_f32_e32 v11, v20, v23
	v_fmac_f32_e32 v5, v20, v22
	v_fma_f32 v20, v8, v22, -v11
	v_mul_f32_e32 v11, v7, v25
	v_mul_f32_e32 v8, v21, v25
	v_fmac_f32_e32 v11, v21, v24
	v_fma_f32 v21, v7, v24, -v8
	v_mov_b32_e32 v7, 2
	v_mul_f32_e32 v22, v19, v27
	v_mul_f32_e32 v23, v4, v29
	v_mul_u32_u24_e32 v8, 60, v9
	v_lshlrev_b32_sdwa v7, v7, v10 dst_sel:DWORD dst_unused:UNUSED_PAD src0_sel:DWORD src1_sel:BYTE_0
	v_fmac_f32_e32 v22, v16, v26
	v_fmac_f32_e32 v23, v18, v28
	v_add3_u32 v10, 0, v8, v7
	v_mul_f32_e32 v7, v16, v27
	v_mul_f32_e32 v8, v18, v29
	v_add_f32_e32 v24, v22, v23
	v_fma_f32 v19, v19, v26, -v7
	v_fma_f32 v18, v4, v28, -v8
	v_add_f32_e32 v4, v17, v5
	v_add_f32_e32 v7, v5, v11
	;; [unrolled: 1-line block ×3, first 2 shown]
	v_fmac_f32_e32 v2, -0.5, v24
	v_sub_f32_e32 v16, v20, v21
	v_sub_f32_e32 v25, v19, v18
	v_add_f32_e32 v26, v4, v11
	v_fmac_f32_e32 v17, -0.5, v7
	v_add_f32_e32 v4, v8, v23
	v_mov_b32_e32 v8, v2
	v_mul_lo_u16_e32 v9, 15, v30
	v_mov_b32_e32 v7, v17
	v_fmac_f32_e32 v17, 0x3f5db3d7, v16
	v_fmac_f32_e32 v2, 0x3f5db3d7, v25
	;; [unrolled: 1-line block ×3, first 2 shown]
	v_lshlrev_b32_e32 v24, 2, v31
	v_fmac_f32_e32 v7, 0xbf5db3d7, v16
	ds_write_b32 v10, v17 offset:40
	ds_write2_b32 v10, v26, v7 offset1:5
	s_and_saveexec_b64 s[2:3], s[0:1]
	s_cbranch_execz .LBB0_19
; %bb.18:
	v_lshlrev_b32_e32 v7, 2, v9
	v_add3_u32 v7, 0, v24, v7
	ds_write2_b32 v7, v4, v8 offset1:5
	ds_write_b32 v7, v2 offset:40
.LBB0_19:
	s_or_b64 exec, exec, s[2:3]
	s_waitcnt lgkmcnt(0)
	s_barrier
	ds_read_b32 v7, v14
	ds_read_b32 v17, v14 offset:1620
	ds_read_b32 v16, v14 offset:3240
	s_and_saveexec_b64 s[2:3], s[0:1]
	s_cbranch_execz .LBB0_21
; %bb.20:
	ds_read_b32 v8, v14 offset:2592
	ds_read_b32 v4, v15
	ds_read_b32 v2, v14 offset:4212
.LBB0_21:
	s_or_b64 exec, exec, s[2:3]
	v_add_f32_e32 v25, v6, v20
	v_add_f32_e32 v20, v20, v21
	v_fmac_f32_e32 v6, -0.5, v20
	v_sub_f32_e32 v5, v5, v11
	v_mov_b32_e32 v11, v6
	v_fmac_f32_e32 v11, 0x3f5db3d7, v5
	v_fmac_f32_e32 v6, 0xbf5db3d7, v5
	v_add_f32_e32 v5, v3, v19
	v_add_f32_e32 v5, v5, v18
	;; [unrolled: 1-line block ×3, first 2 shown]
	v_fmac_f32_e32 v3, -0.5, v18
	v_sub_f32_e32 v19, v22, v23
	v_mov_b32_e32 v18, v3
	v_add_f32_e32 v25, v25, v21
	v_fmac_f32_e32 v18, 0x3f5db3d7, v19
	v_fmac_f32_e32 v3, 0xbf5db3d7, v19
	s_waitcnt lgkmcnt(0)
	s_barrier
	ds_write2_b32 v10, v25, v11 offset1:5
	ds_write_b32 v10, v6 offset:40
	s_and_saveexec_b64 s[2:3], s[0:1]
	s_cbranch_execz .LBB0_23
; %bb.22:
	v_lshlrev_b32_e32 v6, 2, v9
	v_add3_u32 v6, 0, v24, v6
	ds_write2_b32 v6, v5, v18 offset1:5
	ds_write_b32 v6, v3 offset:40
.LBB0_23:
	s_or_b64 exec, exec, s[2:3]
	s_waitcnt lgkmcnt(0)
	s_barrier
	ds_read_b32 v6, v14
	ds_read_b32 v22, v14 offset:1620
	ds_read_b32 v9, v14 offset:3240
	s_and_saveexec_b64 s[2:3], s[0:1]
	s_cbranch_execz .LBB0_25
; %bb.24:
	ds_read_b32 v18, v14 offset:2592
	ds_read_b32 v5, v15
	ds_read_b32 v3, v14 offset:4212
.LBB0_25:
	s_or_b64 exec, exec, s[2:3]
	s_movk_i32 s2, 0x89
	v_mul_lo_u16_sdwa v10, v12, s2 dst_sel:DWORD dst_unused:UNUSED_PAD src0_sel:BYTE_0 src1_sel:DWORD
	v_lshrrev_b16_e32 v10, 11, v10
	v_mul_lo_u16_e32 v11, 15, v10
	s_mov_b32 s2, 0x8889
	v_sub_u16_e32 v11, v12, v11
	v_mov_b32_e32 v19, 4
	v_mul_u32_u24_sdwa v20, v13, s2 dst_sel:DWORD dst_unused:UNUSED_PAD src0_sel:WORD_0 src1_sel:DWORD
	v_lshlrev_b32_sdwa v19, v19, v11 dst_sel:DWORD dst_unused:UNUSED_PAD src0_sel:DWORD src1_sel:BYTE_0
	v_lshrrev_b32_e32 v20, 19, v20
	global_load_dwordx4 v[23:26], v19, s[8:9] offset:80
	v_mul_lo_u16_e32 v19, 15, v20
	v_sub_u16_e32 v31, v13, v19
	v_lshlrev_b32_e32 v19, 4, v31
	global_load_dwordx4 v[27:30], v19, s[8:9] offset:80
	v_mov_b32_e32 v19, 2
	v_mul_u32_u24_e32 v21, 0xb4, v10
	v_mul_lo_u16_e32 v10, 45, v20
	v_lshlrev_b32_sdwa v11, v19, v11 dst_sel:DWORD dst_unused:UNUSED_PAD src0_sel:DWORD src1_sel:BYTE_0
	v_add3_u32 v11, 0, v21, v11
	s_waitcnt vmcnt(0) lgkmcnt(0)
	s_barrier
	v_mul_f32_e32 v20, v22, v24
	v_mul_f32_e32 v24, v17, v24
	v_fmac_f32_e32 v20, v17, v23
	v_mul_f32_e32 v21, v9, v26
	v_mul_f32_e32 v19, v18, v28
	;; [unrolled: 1-line block ×4, first 2 shown]
	v_fmac_f32_e32 v19, v8, v27
	v_fmac_f32_e32 v17, v2, v29
	v_mul_f32_e32 v26, v16, v26
	v_fmac_f32_e32 v21, v16, v25
	v_mul_f32_e32 v16, v2, v30
	v_fma_f32 v8, v18, v27, -v28
	v_add_f32_e32 v18, v19, v17
	v_fma_f32 v22, v22, v23, -v24
	v_fma_f32 v23, v9, v25, -v26
	;; [unrolled: 1-line block ×3, first 2 shown]
	v_add_f32_e32 v2, v7, v20
	v_add_f32_e32 v3, v20, v21
	;; [unrolled: 1-line block ×3, first 2 shown]
	v_fmac_f32_e32 v4, -0.5, v18
	v_sub_f32_e32 v16, v22, v23
	v_sub_f32_e32 v25, v8, v24
	v_add_f32_e32 v26, v2, v21
	v_fmac_f32_e32 v7, -0.5, v3
	v_add_f32_e32 v2, v9, v17
	v_mov_b32_e32 v9, v4
	v_mov_b32_e32 v3, v7
	v_fmac_f32_e32 v7, 0x3f5db3d7, v16
	v_fmac_f32_e32 v4, 0x3f5db3d7, v25
	;; [unrolled: 1-line block ×3, first 2 shown]
	v_lshlrev_b32_e32 v25, 2, v31
	v_fmac_f32_e32 v3, 0xbf5db3d7, v16
	ds_write_b32 v11, v7 offset:120
	ds_write2_b32 v11, v26, v3 offset1:15
	s_and_saveexec_b64 s[2:3], s[0:1]
	s_cbranch_execz .LBB0_27
; %bb.26:
	v_lshlrev_b32_e32 v3, 2, v10
	v_add3_u32 v3, 0, v25, v3
	ds_write2_b32 v3, v2, v9 offset1:15
	ds_write_b32 v3, v4 offset:120
.LBB0_27:
	s_or_b64 exec, exec, s[2:3]
	s_waitcnt lgkmcnt(0)
	s_barrier
	ds_read_b32 v7, v14
	ds_read_b32 v18, v14 offset:1620
	ds_read_b32 v16, v14 offset:3240
	s_and_saveexec_b64 s[2:3], s[0:1]
	s_cbranch_execz .LBB0_29
; %bb.28:
	ds_read_b32 v9, v14 offset:2592
	ds_read_b32 v2, v15
	ds_read_b32 v4, v14 offset:4212
.LBB0_29:
	s_or_b64 exec, exec, s[2:3]
	v_add_f32_e32 v3, v6, v22
	v_add_f32_e32 v26, v3, v23
	v_add_f32_e32 v3, v22, v23
	v_fmac_f32_e32 v6, -0.5, v3
	v_sub_f32_e32 v3, v20, v21
	v_mov_b32_e32 v20, v6
	v_fmac_f32_e32 v20, 0x3f5db3d7, v3
	v_fmac_f32_e32 v6, 0xbf5db3d7, v3
	v_add_f32_e32 v3, v5, v8
	v_add_f32_e32 v8, v8, v24
	v_fmac_f32_e32 v5, -0.5, v8
	v_sub_f32_e32 v8, v19, v17
	v_mov_b32_e32 v19, v5
	v_add_f32_e32 v3, v3, v24
	v_fmac_f32_e32 v19, 0x3f5db3d7, v8
	v_fmac_f32_e32 v5, 0xbf5db3d7, v8
	s_waitcnt lgkmcnt(0)
	s_barrier
	ds_write2_b32 v11, v26, v20 offset1:15
	ds_write_b32 v11, v6 offset:120
	s_and_saveexec_b64 s[2:3], s[0:1]
	s_cbranch_execz .LBB0_31
; %bb.30:
	v_lshlrev_b32_e32 v6, 2, v10
	v_add3_u32 v6, 0, v25, v6
	ds_write2_b32 v6, v3, v19 offset1:15
	ds_write_b32 v6, v5 offset:120
.LBB0_31:
	s_or_b64 exec, exec, s[2:3]
	s_waitcnt lgkmcnt(0)
	s_barrier
	ds_read_b32 v8, v14
	ds_read_b32 v22, v14 offset:1620
	ds_read_b32 v6, v14 offset:3240
	s_and_saveexec_b64 s[2:3], s[0:1]
	s_cbranch_execz .LBB0_33
; %bb.32:
	ds_read_b32 v19, v14 offset:2592
	ds_read_b32 v3, v15
	ds_read_b32 v5, v14 offset:4212
.LBB0_33:
	s_or_b64 exec, exec, s[2:3]
	s_movk_i32 s2, 0x6d
	v_mul_lo_u16_sdwa v10, v12, s2 dst_sel:DWORD dst_unused:UNUSED_PAD src0_sel:BYTE_0 src1_sel:DWORD
	v_sub_u16_sdwa v11, v12, v10 dst_sel:DWORD dst_unused:UNUSED_PAD src0_sel:DWORD src1_sel:BYTE_1
	v_lshrrev_b16_e32 v11, 1, v11
	v_and_b32_e32 v11, 0x7f, v11
	v_add_u16_sdwa v10, v11, v10 dst_sel:DWORD dst_unused:UNUSED_PAD src0_sel:DWORD src1_sel:BYTE_1
	v_lshrrev_b16_e32 v11, 5, v10
	v_mul_lo_u16_e32 v10, 45, v11
	v_sub_u16_e32 v17, v12, v10
	v_mov_b32_e32 v10, 4
	s_movk_i32 s2, 0x2d83
	v_lshlrev_b32_sdwa v20, v10, v17 dst_sel:DWORD dst_unused:UNUSED_PAD src0_sel:DWORD src1_sel:BYTE_0
	v_mul_u32_u24_sdwa v10, v13, s2 dst_sel:DWORD dst_unused:UNUSED_PAD src0_sel:WORD_0 src1_sel:DWORD
	v_lshrrev_b32_e32 v10, 19, v10
	global_load_dwordx4 v[23:26], v20, s[8:9] offset:320
	v_mul_lo_u16_e32 v20, 45, v10
	v_sub_u16_e32 v31, v13, v20
	v_lshlrev_b32_e32 v20, 4, v31
	global_load_dwordx4 v[27:30], v20, s[8:9] offset:320
	v_mov_b32_e32 v20, 2
	v_mul_u32_u24_e32 v11, 0x21c, v11
	v_lshlrev_b32_sdwa v17, v20, v17 dst_sel:DWORD dst_unused:UNUSED_PAD src0_sel:DWORD src1_sel:BYTE_0
	v_add3_u32 v11, 0, v11, v17
	s_waitcnt vmcnt(0) lgkmcnt(0)
	s_barrier
	v_mul_f32_e32 v17, v22, v24
	v_mul_f32_e32 v24, v18, v24
	v_fmac_f32_e32 v17, v18, v23
	v_mul_f32_e32 v20, v6, v26
	v_mul_f32_e32 v21, v19, v28
	;; [unrolled: 1-line block ×4, first 2 shown]
	v_fmac_f32_e32 v21, v9, v27
	v_fmac_f32_e32 v18, v4, v29
	v_mul_f32_e32 v26, v16, v26
	v_fma_f32 v22, v22, v23, -v24
	v_fmac_f32_e32 v20, v16, v25
	v_mul_f32_e32 v16, v4, v30
	v_fma_f32 v24, v19, v27, -v28
	v_add_f32_e32 v19, v21, v18
	v_fma_f32 v23, v6, v25, -v26
	v_fma_f32 v4, v5, v29, -v16
	v_add_f32_e32 v6, v17, v20
	v_add_f32_e32 v9, v2, v21
	v_fmac_f32_e32 v2, -0.5, v19
	v_add_f32_e32 v5, v7, v17
	v_sub_f32_e32 v16, v22, v23
	v_sub_f32_e32 v25, v24, v4
	v_fmac_f32_e32 v7, -0.5, v6
	v_add_f32_e32 v6, v9, v18
	v_mov_b32_e32 v9, v2
	v_mov_b32_e32 v19, v7
	v_fmac_f32_e32 v7, 0x3f5db3d7, v16
	v_fmac_f32_e32 v2, 0x3f5db3d7, v25
	;; [unrolled: 1-line block ×3, first 2 shown]
	v_lshlrev_b32_e32 v25, 2, v31
	v_add_f32_e32 v5, v5, v20
	v_fmac_f32_e32 v19, 0xbf5db3d7, v16
	ds_write_b32 v11, v7 offset:360
	ds_write2_b32 v11, v5, v19 offset1:45
	s_and_saveexec_b64 s[2:3], s[0:1]
	s_cbranch_execz .LBB0_35
; %bb.34:
	v_mul_lo_u16_e32 v5, 0x87, v10
	v_lshlrev_b32_e32 v5, 2, v5
	v_add3_u32 v5, 0, v25, v5
	ds_write2_b32 v5, v6, v9 offset1:45
	ds_write_b32 v5, v2 offset:360
.LBB0_35:
	s_or_b64 exec, exec, s[2:3]
	s_waitcnt lgkmcnt(0)
	s_barrier
	ds_read_b32 v5, v14
	ds_read_b32 v19, v14 offset:1620
	ds_read_b32 v16, v14 offset:3240
	s_and_saveexec_b64 s[2:3], s[0:1]
	s_cbranch_execz .LBB0_37
; %bb.36:
	ds_read_b32 v9, v14 offset:2592
	ds_read_b32 v6, v15
	ds_read_b32 v2, v14 offset:4212
.LBB0_37:
	s_or_b64 exec, exec, s[2:3]
	v_add_f32_e32 v7, v8, v22
	v_add_f32_e32 v26, v7, v23
	;; [unrolled: 1-line block ×3, first 2 shown]
	v_fmac_f32_e32 v8, -0.5, v7
	v_sub_f32_e32 v7, v17, v20
	v_mov_b32_e32 v17, v8
	v_fmac_f32_e32 v17, 0x3f5db3d7, v7
	v_fmac_f32_e32 v8, 0xbf5db3d7, v7
	v_add_f32_e32 v7, v3, v24
	v_add_f32_e32 v7, v7, v4
	;; [unrolled: 1-line block ×3, first 2 shown]
	v_fmac_f32_e32 v3, -0.5, v4
	v_sub_f32_e32 v4, v21, v18
	v_mov_b32_e32 v22, v3
	v_fmac_f32_e32 v22, 0x3f5db3d7, v4
	v_fmac_f32_e32 v3, 0xbf5db3d7, v4
	s_waitcnt lgkmcnt(0)
	s_barrier
	ds_write2_b32 v11, v26, v17 offset1:45
	ds_write_b32 v11, v8 offset:360
	s_and_saveexec_b64 s[2:3], s[0:1]
	s_cbranch_execz .LBB0_39
; %bb.38:
	v_mul_lo_u16_e32 v4, 0x87, v10
	v_lshlrev_b32_e32 v4, 2, v4
	v_add3_u32 v4, 0, v25, v4
	ds_write2_b32 v4, v7, v22 offset1:45
	ds_write_b32 v4, v3 offset:360
.LBB0_39:
	s_or_b64 exec, exec, s[2:3]
	s_waitcnt lgkmcnt(0)
	s_barrier
	ds_read_b32 v4, v14
	ds_read_b32 v10, v14 offset:1620
	ds_read_b32 v8, v14 offset:3240
	s_and_saveexec_b64 s[2:3], s[0:1]
	s_cbranch_execz .LBB0_41
; %bb.40:
	ds_read_b32 v22, v14 offset:2592
	ds_read_b32 v7, v15
	ds_read_b32 v3, v14 offset:4212
.LBB0_41:
	s_or_b64 exec, exec, s[2:3]
	s_movk_i32 s2, 0x87
	v_add_u32_e32 v11, 0xffffff79, v12
	v_cmp_gt_u32_e64 s[2:3], s2, v12
	v_cndmask_b32_e64 v11, v11, v12, s[2:3]
	v_lshlrev_b32_e32 v17, 1, v11
	v_mov_b32_e32 v18, 0
	v_lshlrev_b64 v[17:18], 3, v[17:18]
	v_mov_b32_e32 v21, s9
	v_add_co_u32_e64 v20, s[2:3], s8, v17
	v_addc_co_u32_e64 v21, s[2:3], v21, v18, s[2:3]
	s_movk_i32 s2, 0x795d
	v_mul_u32_u24_sdwa v17, v13, s2 dst_sel:DWORD dst_unused:UNUSED_PAD src0_sel:WORD_0 src1_sel:DWORD
	v_lshrrev_b32_e32 v17, 22, v17
	v_mul_lo_u16_e32 v18, 0x87, v17
	v_sub_u16_e32 v32, v13, v18
	global_load_dwordx4 v[24:27], v[20:21], off offset:1040
	v_lshlrev_b32_e32 v18, 4, v32
	global_load_dwordx4 v[28:31], v18, s[8:9] offset:1040
	s_movk_i32 s2, 0x86
	v_mov_b32_e32 v18, 0x654
	v_cmp_lt_u32_e64 s[2:3], s2, v12
	v_cndmask_b32_e64 v18, 0, v18, s[2:3]
	v_lshlrev_b32_e32 v11, 2, v11
	v_add3_u32 v18, 0, v18, v11
	s_waitcnt vmcnt(0) lgkmcnt(0)
	s_barrier
	v_mul_f32_e32 v20, v10, v25
	v_mul_f32_e32 v11, v19, v25
	;; [unrolled: 1-line block ×4, first 2 shown]
	v_fmac_f32_e32 v20, v19, v24
	v_mul_f32_e32 v19, v3, v31
	v_mul_f32_e32 v25, v16, v27
	;; [unrolled: 1-line block ×3, first 2 shown]
	v_fma_f32 v24, v10, v24, -v11
	v_fmac_f32_e32 v21, v16, v26
	v_mul_f32_e32 v10, v2, v31
	v_fmac_f32_e32 v23, v9, v28
	v_fmac_f32_e32 v19, v2, v30
	v_fma_f32 v25, v8, v26, -v25
	v_fma_f32 v9, v22, v28, -v27
	;; [unrolled: 1-line block ×3, first 2 shown]
	v_add_f32_e32 v3, v20, v21
	v_add_f32_e32 v11, v23, v19
	v_add_f32_e32 v2, v5, v20
	v_sub_f32_e32 v10, v24, v25
	v_add_f32_e32 v8, v6, v23
	v_fmac_f32_e32 v5, -0.5, v3
	v_fmac_f32_e32 v6, -0.5, v11
	v_sub_f32_e32 v16, v9, v22
	v_add_f32_e32 v26, v2, v21
	v_add_f32_e32 v2, v8, v19
	v_mov_b32_e32 v3, v5
	v_fmac_f32_e32 v5, 0x3f5db3d7, v10
	v_mov_b32_e32 v8, v6
	v_fmac_f32_e32 v6, 0x3f5db3d7, v16
	v_fmac_f32_e32 v3, 0xbf5db3d7, v10
	;; [unrolled: 1-line block ×3, first 2 shown]
	ds_write_b32 v18, v5 offset:1080
	ds_write2_b32 v18, v26, v3 offset1:135
	v_lshlrev_b32_e32 v5, 2, v32
	s_and_saveexec_b64 s[2:3], s[0:1]
	s_cbranch_execz .LBB0_43
; %bb.42:
	v_mul_lo_u16_e32 v3, 0x195, v17
	v_lshlrev_b32_e32 v3, 2, v3
	v_add3_u32 v3, 0, v5, v3
	ds_write2_b32 v3, v2, v8 offset1:135
	ds_write_b32 v3, v6 offset:1080
.LBB0_43:
	s_or_b64 exec, exec, s[2:3]
	s_waitcnt lgkmcnt(0)
	s_barrier
	ds_read_b32 v10, v14
	ds_read_b32 v11, v14 offset:1620
	ds_read_b32 v16, v14 offset:3240
	s_and_saveexec_b64 s[2:3], s[0:1]
	s_cbranch_execz .LBB0_45
; %bb.44:
	ds_read_b32 v8, v14 offset:2592
	ds_read_b32 v2, v15
	ds_read_b32 v6, v14 offset:4212
.LBB0_45:
	s_or_b64 exec, exec, s[2:3]
	v_add_f32_e32 v3, v4, v24
	v_add_f32_e32 v26, v3, v25
	;; [unrolled: 1-line block ×3, first 2 shown]
	v_fmac_f32_e32 v4, -0.5, v3
	v_sub_f32_e32 v3, v20, v21
	v_mov_b32_e32 v20, v4
	v_fmac_f32_e32 v20, 0x3f5db3d7, v3
	v_fmac_f32_e32 v4, 0xbf5db3d7, v3
	v_add_f32_e32 v3, v7, v9
	v_add_f32_e32 v9, v9, v22
	v_fmac_f32_e32 v7, -0.5, v9
	v_sub_f32_e32 v19, v23, v19
	v_mov_b32_e32 v9, v7
	v_add_f32_e32 v3, v3, v22
	v_fmac_f32_e32 v9, 0x3f5db3d7, v19
	v_fmac_f32_e32 v7, 0xbf5db3d7, v19
	s_waitcnt lgkmcnt(0)
	s_barrier
	ds_write2_b32 v18, v26, v20 offset1:135
	ds_write_b32 v18, v4 offset:1080
	s_and_saveexec_b64 s[2:3], s[0:1]
	s_cbranch_execz .LBB0_47
; %bb.46:
	v_mul_lo_u16_e32 v4, 0x195, v17
	v_lshlrev_b32_e32 v4, 2, v4
	v_add3_u32 v4, 0, v5, v4
	ds_write2_b32 v4, v3, v9 offset1:135
	ds_write_b32 v4, v7 offset:1080
.LBB0_47:
	s_or_b64 exec, exec, s[2:3]
	s_waitcnt lgkmcnt(0)
	s_barrier
	ds_read_b32 v17, v14
	ds_read_b32 v18, v14 offset:1620
	ds_read_b32 v19, v14 offset:3240
	s_and_saveexec_b64 s[2:3], s[0:1]
	s_cbranch_execz .LBB0_49
; %bb.48:
	ds_read_b32 v9, v14 offset:2592
	ds_read_b32 v3, v15
	ds_read_b32 v7, v14 offset:4212
.LBB0_49:
	s_or_b64 exec, exec, s[2:3]
	s_and_saveexec_b64 s[2:3], vcc
	s_cbranch_execz .LBB0_52
; %bb.50:
	v_lshlrev_b32_e32 v4, 1, v12
	v_mov_b32_e32 v5, 0
	v_lshlrev_b64 v[14:15], 3, v[4:5]
	v_mov_b32_e32 v4, s9
	v_add_co_u32_e32 v14, vcc, s8, v14
	v_addc_co_u32_e32 v15, vcc, v4, v15, vcc
	global_load_dwordx4 v[20:23], v[14:15], off offset:3200
	v_mad_u64_u32 v[14:15], s[2:3], s12, v12, 0
	v_add_u32_e32 v30, 0x195, v12
	v_mad_u64_u32 v[24:25], s[2:3], s12, v30, 0
	v_mov_b32_e32 v4, s15
	v_add_u32_e32 v31, 0x32a, v12
	v_add_co_u32_e32 v0, vcc, s14, v0
	v_addc_co_u32_e32 v1, vcc, v4, v1, vcc
	v_mad_u64_u32 v[26:27], s[2:3], s12, v31, 0
	v_mov_b32_e32 v4, v15
	v_mad_u64_u32 v[28:29], s[2:3], s13, v12, v[4:5]
	v_mov_b32_e32 v4, v25
	;; [unrolled: 2-line block ×4, first 2 shown]
	v_lshlrev_b64 v[14:15], 3, v[14:15]
	v_mov_b32_e32 v25, v29
	v_lshlrev_b64 v[24:25], 3, v[24:25]
	v_add_co_u32_e32 v14, vcc, v0, v14
	v_mov_b32_e32 v27, v30
	v_addc_co_u32_e32 v15, vcc, v1, v15, vcc
	v_lshlrev_b64 v[26:27], 3, v[26:27]
	v_add_co_u32_e32 v24, vcc, v0, v24
	v_addc_co_u32_e32 v25, vcc, v1, v25, vcc
	s_waitcnt vmcnt(0)
	v_mul_f32_e32 v4, v11, v21
	v_mul_f32_e32 v28, v16, v23
	s_waitcnt lgkmcnt(1)
	v_mul_f32_e32 v21, v18, v21
	s_waitcnt lgkmcnt(0)
	v_mul_f32_e32 v23, v19, v23
	v_fma_f32 v4, v18, v20, -v4
	v_fma_f32 v18, v19, v22, -v28
	v_fmac_f32_e32 v21, v11, v20
	v_fmac_f32_e32 v23, v16, v22
	v_add_f32_e32 v11, v17, v4
	v_add_f32_e32 v16, v10, v21
	;; [unrolled: 1-line block ×3, first 2 shown]
	v_sub_f32_e32 v22, v21, v23
	v_add_f32_e32 v21, v21, v23
	v_sub_f32_e32 v4, v4, v18
	v_add_f32_e32 v19, v11, v18
	v_add_f32_e32 v18, v16, v23
	v_fma_f32 v11, -0.5, v20, v17
	v_fma_f32 v10, -0.5, v21, v10
	global_store_dwordx2 v[14:15], v[18:19], off
	v_mov_b32_e32 v15, v11
	v_fmac_f32_e32 v11, 0x3f5db3d7, v22
	v_mov_b32_e32 v14, v10
	v_fmac_f32_e32 v10, 0xbf5db3d7, v4
	global_store_dwordx2 v[24:25], v[10:11], off
	v_add_co_u32_e32 v10, vcc, v0, v26
	v_fmac_f32_e32 v15, 0xbf5db3d7, v22
	v_fmac_f32_e32 v14, 0x3f5db3d7, v4
	v_addc_co_u32_e32 v11, vcc, v1, v27, vcc
	global_store_dwordx2 v[10:11], v[14:15], off
	s_and_b64 exec, exec, s[0:1]
	s_cbranch_execz .LBB0_52
; %bb.51:
	v_add_u32_e32 v4, 0xffffff5e, v12
	v_cndmask_b32_e64 v4, v4, v13, s[0:1]
	v_lshlrev_b32_e32 v4, 1, v4
	v_lshlrev_b64 v[4:5], 3, v[4:5]
	v_mov_b32_e32 v10, s9
	v_add_co_u32_e32 v4, vcc, s8, v4
	v_addc_co_u32_e32 v5, vcc, v10, v5, vcc
	global_load_dwordx4 v[13:16], v[4:5], off offset:3200
	v_add_u32_e32 v19, 0xf3, v12
	v_add_u32_e32 v21, 0x41d, v12
	v_mad_u64_u32 v[4:5], s[0:1], s12, v19, 0
	v_mad_u64_u32 v[17:18], s[0:1], s12, v21, 0
	v_add_u32_e32 v20, 0x288, v12
	v_mad_u64_u32 v[10:11], s[0:1], s12, v20, 0
	v_mov_b32_e32 v12, v18
	v_mad_u64_u32 v[18:19], s[0:1], s13, v19, v[5:6]
	v_mad_u64_u32 v[19:20], s[0:1], s13, v20, v[11:12]
	v_mov_b32_e32 v5, v18
	v_lshlrev_b64 v[4:5], 3, v[4:5]
	v_mov_b32_e32 v11, v19
	v_lshlrev_b64 v[10:11], 3, v[10:11]
	v_add_co_u32_e32 v4, vcc, v0, v4
	v_addc_co_u32_e32 v5, vcc, v1, v5, vcc
	v_add_co_u32_e32 v10, vcc, v0, v10
	v_addc_co_u32_e32 v11, vcc, v1, v11, vcc
	s_waitcnt vmcnt(0)
	v_mad_u64_u32 v[20:21], s[0:1], s13, v21, v[12:13]
	v_mul_f32_e32 v12, v9, v14
	v_mul_f32_e32 v14, v8, v14
	v_mov_b32_e32 v18, v20
	v_lshlrev_b64 v[17:18], 3, v[17:18]
	v_fmac_f32_e32 v12, v8, v13
	v_add_co_u32_e32 v0, vcc, v0, v17
	v_mul_f32_e32 v17, v7, v16
	v_mul_f32_e32 v16, v6, v16
	v_fma_f32 v8, v9, v13, -v14
	v_fmac_f32_e32 v17, v6, v15
	v_fma_f32 v7, v7, v15, -v16
	v_add_f32_e32 v9, v12, v17
	v_sub_f32_e32 v13, v8, v7
	v_add_f32_e32 v14, v3, v8
	v_add_f32_e32 v8, v8, v7
	;; [unrolled: 1-line block ×3, first 2 shown]
	v_fmac_f32_e32 v2, -0.5, v9
	v_fmac_f32_e32 v3, -0.5, v8
	v_sub_f32_e32 v12, v12, v17
	v_mov_b32_e32 v8, v2
	v_mov_b32_e32 v9, v3
	v_add_f32_e32 v6, v6, v17
	v_add_f32_e32 v7, v14, v7
	v_fmac_f32_e32 v8, 0xbf5db3d7, v13
	v_fmac_f32_e32 v9, 0x3f5db3d7, v12
	v_addc_co_u32_e32 v1, vcc, v1, v18, vcc
	v_fmac_f32_e32 v2, 0x3f5db3d7, v13
	v_fmac_f32_e32 v3, 0xbf5db3d7, v12
	global_store_dwordx2 v[4:5], v[6:7], off
	global_store_dwordx2 v[10:11], v[8:9], off
	;; [unrolled: 1-line block ×3, first 2 shown]
.LBB0_52:
	s_endpgm
	.section	.rodata,"a",@progbits
	.p2align	6, 0x0
	.amdhsa_kernel fft_rtc_back_len1215_factors_5_3_3_3_3_3_wgs_243_tpt_243_halfLds_sp_ip_CI_sbrr_dirReg
		.amdhsa_group_segment_fixed_size 0
		.amdhsa_private_segment_fixed_size 0
		.amdhsa_kernarg_size 88
		.amdhsa_user_sgpr_count 6
		.amdhsa_user_sgpr_private_segment_buffer 1
		.amdhsa_user_sgpr_dispatch_ptr 0
		.amdhsa_user_sgpr_queue_ptr 0
		.amdhsa_user_sgpr_kernarg_segment_ptr 1
		.amdhsa_user_sgpr_dispatch_id 0
		.amdhsa_user_sgpr_flat_scratch_init 0
		.amdhsa_user_sgpr_private_segment_size 0
		.amdhsa_uses_dynamic_stack 0
		.amdhsa_system_sgpr_private_segment_wavefront_offset 0
		.amdhsa_system_sgpr_workgroup_id_x 1
		.amdhsa_system_sgpr_workgroup_id_y 0
		.amdhsa_system_sgpr_workgroup_id_z 0
		.amdhsa_system_sgpr_workgroup_info 0
		.amdhsa_system_vgpr_workitem_id 0
		.amdhsa_next_free_vgpr 33
		.amdhsa_next_free_sgpr 24
		.amdhsa_reserve_vcc 1
		.amdhsa_reserve_flat_scratch 0
		.amdhsa_float_round_mode_32 0
		.amdhsa_float_round_mode_16_64 0
		.amdhsa_float_denorm_mode_32 3
		.amdhsa_float_denorm_mode_16_64 3
		.amdhsa_dx10_clamp 1
		.amdhsa_ieee_mode 1
		.amdhsa_fp16_overflow 0
		.amdhsa_exception_fp_ieee_invalid_op 0
		.amdhsa_exception_fp_denorm_src 0
		.amdhsa_exception_fp_ieee_div_zero 0
		.amdhsa_exception_fp_ieee_overflow 0
		.amdhsa_exception_fp_ieee_underflow 0
		.amdhsa_exception_fp_ieee_inexact 0
		.amdhsa_exception_int_div_zero 0
	.end_amdhsa_kernel
	.text
.Lfunc_end0:
	.size	fft_rtc_back_len1215_factors_5_3_3_3_3_3_wgs_243_tpt_243_halfLds_sp_ip_CI_sbrr_dirReg, .Lfunc_end0-fft_rtc_back_len1215_factors_5_3_3_3_3_3_wgs_243_tpt_243_halfLds_sp_ip_CI_sbrr_dirReg
                                        ; -- End function
	.section	.AMDGPU.csdata,"",@progbits
; Kernel info:
; codeLenInByte = 5348
; NumSgprs: 28
; NumVgprs: 33
; ScratchSize: 0
; MemoryBound: 0
; FloatMode: 240
; IeeeMode: 1
; LDSByteSize: 0 bytes/workgroup (compile time only)
; SGPRBlocks: 3
; VGPRBlocks: 8
; NumSGPRsForWavesPerEU: 28
; NumVGPRsForWavesPerEU: 33
; Occupancy: 7
; WaveLimiterHint : 1
; COMPUTE_PGM_RSRC2:SCRATCH_EN: 0
; COMPUTE_PGM_RSRC2:USER_SGPR: 6
; COMPUTE_PGM_RSRC2:TRAP_HANDLER: 0
; COMPUTE_PGM_RSRC2:TGID_X_EN: 1
; COMPUTE_PGM_RSRC2:TGID_Y_EN: 0
; COMPUTE_PGM_RSRC2:TGID_Z_EN: 0
; COMPUTE_PGM_RSRC2:TIDIG_COMP_CNT: 0
	.type	__hip_cuid_600c2c762dc4a368,@object ; @__hip_cuid_600c2c762dc4a368
	.section	.bss,"aw",@nobits
	.globl	__hip_cuid_600c2c762dc4a368
__hip_cuid_600c2c762dc4a368:
	.byte	0                               ; 0x0
	.size	__hip_cuid_600c2c762dc4a368, 1

	.ident	"AMD clang version 19.0.0git (https://github.com/RadeonOpenCompute/llvm-project roc-6.4.0 25133 c7fe45cf4b819c5991fe208aaa96edf142730f1d)"
	.section	".note.GNU-stack","",@progbits
	.addrsig
	.addrsig_sym __hip_cuid_600c2c762dc4a368
	.amdgpu_metadata
---
amdhsa.kernels:
  - .args:
      - .actual_access:  read_only
        .address_space:  global
        .offset:         0
        .size:           8
        .value_kind:     global_buffer
      - .offset:         8
        .size:           8
        .value_kind:     by_value
      - .actual_access:  read_only
        .address_space:  global
        .offset:         16
        .size:           8
        .value_kind:     global_buffer
      - .actual_access:  read_only
        .address_space:  global
        .offset:         24
        .size:           8
        .value_kind:     global_buffer
      - .offset:         32
        .size:           8
        .value_kind:     by_value
      - .actual_access:  read_only
        .address_space:  global
        .offset:         40
        .size:           8
        .value_kind:     global_buffer
      - .actual_access:  read_only
        .address_space:  global
        .offset:         48
        .size:           8
        .value_kind:     global_buffer
      - .offset:         56
        .size:           4
        .value_kind:     by_value
      - .actual_access:  read_only
        .address_space:  global
        .offset:         64
        .size:           8
        .value_kind:     global_buffer
      - .actual_access:  read_only
        .address_space:  global
        .offset:         72
        .size:           8
        .value_kind:     global_buffer
      - .address_space:  global
        .offset:         80
        .size:           8
        .value_kind:     global_buffer
    .group_segment_fixed_size: 0
    .kernarg_segment_align: 8
    .kernarg_segment_size: 88
    .language:       OpenCL C
    .language_version:
      - 2
      - 0
    .max_flat_workgroup_size: 243
    .name:           fft_rtc_back_len1215_factors_5_3_3_3_3_3_wgs_243_tpt_243_halfLds_sp_ip_CI_sbrr_dirReg
    .private_segment_fixed_size: 0
    .sgpr_count:     28
    .sgpr_spill_count: 0
    .symbol:         fft_rtc_back_len1215_factors_5_3_3_3_3_3_wgs_243_tpt_243_halfLds_sp_ip_CI_sbrr_dirReg.kd
    .uniform_work_group_size: 1
    .uses_dynamic_stack: false
    .vgpr_count:     33
    .vgpr_spill_count: 0
    .wavefront_size: 64
amdhsa.target:   amdgcn-amd-amdhsa--gfx906
amdhsa.version:
  - 1
  - 2
...

	.end_amdgpu_metadata
